;; amdgpu-corpus repo=zjin-lcf/HeCBench kind=compiled arch=gfx1100 opt=O3
	.text
	.amdgcn_target "amdgcn-amd-amdhsa--gfx1100"
	.amdhsa_code_object_version 6
	.protected	_Z7cenergyifPfPK15HIP_vector_typeIfLj4EE ; -- Begin function _Z7cenergyifPfPK15HIP_vector_typeIfLj4EE
	.globl	_Z7cenergyifPfPK15HIP_vector_typeIfLj4EE
	.p2align	8
	.type	_Z7cenergyifPfPK15HIP_vector_typeIfLj4EE,@function
_Z7cenergyifPfPK15HIP_vector_typeIfLj4EE: ; @_Z7cenergyifPfPK15HIP_vector_typeIfLj4EE
; %bb.0:
	s_clause 0x2
	s_load_b32 s2, s[0:1], 0x24
	s_load_b64 s[12:13], s[0:1], 0x0
	s_load_b128 s[8:11], s[0:1], 0x8
	v_bfe_u32 v2, v0, 10, 10
	v_and_b32_e32 v3, 0x3ff, v0
	s_waitcnt lgkmcnt(0)
	s_lshr_b32 s3, s2, 16
	s_and_b32 s16, s2, 0xffff
	s_delay_alu instid0(VALU_DEP_1)
	v_mad_u64_u32 v[0:1], null, s15, s3, v[2:3]
	s_mul_i32 s14, s14, s16
	s_cmp_lt_i32 s12, 1
	v_lshl_add_u32 v9, s14, 3, v3
	s_cbranch_scc1 .LBB0_3
; %bb.1:
	s_delay_alu instid0(VALU_DEP_2) | instskip(NEXT) | instid1(VALU_DEP_2)
	v_cvt_f32_u32_e32 v2, v0
	v_cvt_f32_u32_e32 v3, v9
	v_mul_f32_e64 v10, 0x41000000, s13
	v_mov_b32_e32 v1, 0
	v_dual_mov_b32 v5, 0 :: v_dual_mov_b32 v6, 0
	v_dual_mul_f32 v11, s13, v2 :: v_dual_mov_b32 v2, 0
	v_dual_mul_f32 v12, s13, v3 :: v_dual_mov_b32 v3, 0
	v_dual_mov_b32 v4, 0 :: v_dual_mov_b32 v7, 0
	v_mov_b32_e32 v8, 0
	s_add_u32 s10, s10, 8
	s_addc_u32 s11, s11, 0
.LBB0_2:                                ; =>This Inner Loop Header: Depth=1
	s_add_u32 s2, s10, -8
	s_addc_u32 s3, s11, -1
	s_add_i32 s12, s12, -1
	s_load_b128 s[4:7], s[2:3], 0x0
	s_add_u32 s10, s10, 16
	s_addc_u32 s11, s11, 0
	s_cmp_lg_u32 s12, 0
	s_waitcnt lgkmcnt(0)
	v_dual_subrev_f32 v13, s4, v12 :: v_dual_subrev_f32 v14, s5, v11
	s_delay_alu instid0(VALU_DEP_1) | instskip(NEXT) | instid1(VALU_DEP_2)
	v_add_f32_e32 v15, v10, v13
	v_fma_f32 v14, v14, v14, s6
	s_delay_alu instid0(VALU_DEP_1) | instskip(NEXT) | instid1(VALU_DEP_1)
	v_fma_f32 v13, v13, v13, v14
	v_mul_f32_e32 v18, 0x4b800000, v13
	v_cmp_gt_f32_e64 s2, 0x800000, v13
	s_delay_alu instid0(VALU_DEP_1) | instskip(NEXT) | instid1(VALU_DEP_1)
	v_cndmask_b32_e64 v13, v13, v18, s2
	v_rsq_f32_e32 v13, v13
	s_waitcnt_depctr 0xfff
	v_dual_add_f32 v16, v10, v15 :: v_dual_mul_f32 v23, 0x45800000, v13
	s_delay_alu instid0(VALU_DEP_1) | instskip(SKIP_1) | instid1(VALU_DEP_3)
	v_add_f32_e32 v17, v10, v16
	v_fma_f32 v16, v16, v16, v14
	v_cndmask_b32_e64 v13, v13, v23, s2
	s_delay_alu instid0(VALU_DEP_2) | instskip(SKIP_2) | instid1(VALU_DEP_2)
	v_mul_f32_e32 v18, 0x4b800000, v16
	v_fma_f32 v15, v15, v15, v14
	v_cmp_gt_f32_e64 s3, 0x800000, v16
	v_mul_f32_e32 v19, 0x4b800000, v15
	v_cmp_gt_f32_e32 vcc_lo, 0x800000, v15
	s_delay_alu instid0(VALU_DEP_3) | instskip(NEXT) | instid1(VALU_DEP_3)
	v_cndmask_b32_e64 v16, v16, v18, s3
	v_cndmask_b32_e32 v15, v15, v19, vcc_lo
	s_delay_alu instid0(VALU_DEP_2) | instskip(NEXT) | instid1(VALU_DEP_1)
	v_rsq_f32_e32 v16, v16
	v_rsq_f32_e32 v15, v15
	s_waitcnt_depctr 0xfff
	v_mul_f32_e32 v24, 0x45800000, v15
	v_add_f32_e32 v20, v10, v17
	v_fma_f32 v17, v17, v17, v14
	s_delay_alu instid0(VALU_DEP_3) | instskip(NEXT) | instid1(VALU_DEP_2)
	v_cndmask_b32_e32 v15, v15, v24, vcc_lo
	v_dual_add_f32 v19, v10, v20 :: v_dual_mul_f32 v18, 0x4b800000, v17
	v_fma_f32 v20, v20, v20, v14
	v_cmp_gt_f32_e64 s4, 0x800000, v17
	s_delay_alu instid0(VALU_DEP_4) | instskip(NEXT) | instid1(VALU_DEP_4)
	v_dual_fmac_f32 v1, s7, v13 :: v_dual_fmac_f32 v2, s7, v15
	v_add_f32_e32 v21, v10, v19
	v_fma_f32 v19, v19, v19, v14
	s_delay_alu instid0(VALU_DEP_4)
	v_cndmask_b32_e64 v17, v17, v18, s4
	v_mul_f32_e32 v18, 0x4b800000, v20
	v_cmp_gt_f32_e64 s5, 0x800000, v20
	v_add_f32_e32 v22, v10, v21
	v_cmp_gt_f32_e64 s6, 0x800000, v19
	v_rsq_f32_e32 v17, v17
	s_delay_alu instid0(VALU_DEP_3) | instskip(SKIP_2) | instid1(VALU_DEP_3)
	v_cndmask_b32_e64 v18, v20, v18, s5
	v_fma_f32 v20, v21, v21, v14
	v_dual_mul_f32 v21, 0x4b800000, v19 :: v_dual_fmac_f32 v14, v22, v22
	v_rsq_f32_e32 v18, v18
	s_delay_alu instid0(VALU_DEP_2) | instskip(NEXT) | instid1(VALU_DEP_2)
	v_cmp_gt_f32_e32 vcc_lo, 0x800000, v20
	v_cndmask_b32_e64 v19, v19, v21, s6
	v_mul_f32_e32 v21, 0x45800000, v16
	v_dual_mul_f32 v22, 0x4b800000, v20 :: v_dual_mul_f32 v23, 0x4b800000, v14
	v_cmp_gt_f32_e64 s2, 0x800000, v14
	s_delay_alu instid0(VALU_DEP_4) | instskip(NEXT) | instid1(VALU_DEP_3)
	v_rsq_f32_e32 v19, v19
	v_cndmask_b32_e64 v16, v16, v21, s3
	s_delay_alu instid0(VALU_DEP_3) | instskip(NEXT) | instid1(VALU_DEP_3)
	v_dual_cndmask_b32 v20, v20, v22 :: v_dual_mul_f32 v13, 0x45800000, v17
	v_cndmask_b32_e64 v14, v14, v23, s2
	s_delay_alu instid0(VALU_DEP_2) | instskip(NEXT) | instid1(VALU_DEP_1)
	v_rsq_f32_e32 v20, v20
	v_rsq_f32_e32 v14, v14
	s_delay_alu instid0(TRANS32_DEP_3) | instskip(SKIP_2) | instid1(VALU_DEP_3)
	v_dual_fmac_f32 v3, s7, v16 :: v_dual_mul_f32 v16, 0x45800000, v19
	v_cndmask_b32_e64 v13, v17, v13, s4
	v_mul_f32_e32 v15, 0x45800000, v18
	v_cndmask_b32_e64 v16, v19, v16, s6
	s_delay_alu instid0(VALU_DEP_3) | instskip(NEXT) | instid1(VALU_DEP_3)
	v_fmac_f32_e32 v4, s7, v13
	v_cndmask_b32_e64 v15, v18, v15, s5
	s_delay_alu instid0(TRANS32_DEP_1) | instskip(NEXT) | instid1(VALU_DEP_2)
	v_mul_f32_e32 v22, 0x45800000, v14
	v_dual_fmac_f32 v6, s7, v16 :: v_dual_fmac_f32 v5, s7, v15
	s_delay_alu instid0(VALU_DEP_2) | instskip(NEXT) | instid1(VALU_DEP_1)
	v_cndmask_b32_e64 v14, v14, v22, s2
	v_dual_mul_f32 v21, 0x45800000, v20 :: v_dual_fmac_f32 v8, s7, v14
	s_delay_alu instid0(VALU_DEP_1) | instskip(NEXT) | instid1(VALU_DEP_1)
	v_cndmask_b32_e32 v17, v20, v21, vcc_lo
	v_fmac_f32_e32 v7, s7, v17
	s_cbranch_scc1 .LBB0_2
	s_branch .LBB0_4
.LBB0_3:
	v_dual_mov_b32 v1, 0 :: v_dual_mov_b32 v2, 0
	v_dual_mov_b32 v3, 0 :: v_dual_mov_b32 v4, 0
	;; [unrolled: 1-line block ×4, first 2 shown]
.LBB0_4:
	s_load_b32 s0, s[0:1], 0x18
	s_waitcnt lgkmcnt(0)
	s_mul_i32 s0, s0, s16
	s_delay_alu instid0(SALU_CYCLE_1) | instskip(NEXT) | instid1(VALU_DEP_1)
	v_mul_lo_u32 v0, s0, v0
	v_lshl_add_u32 v9, v0, 3, v9
	s_delay_alu instid0(VALU_DEP_1) | instskip(NEXT) | instid1(VALU_DEP_1)
	v_dual_mov_b32 v10, 0 :: v_dual_add_nc_u32 v11, 8, v9
	v_dual_mov_b32 v12, v10 :: v_dual_add_nc_u32 v13, 16, v9
	v_lshlrev_b64 v[19:20], 2, v[9:10]
	v_dual_mov_b32 v14, v10 :: v_dual_add_nc_u32 v15, 24, v9
	s_delay_alu instid0(VALU_DEP_3) | instskip(SKIP_1) | instid1(VALU_DEP_3)
	v_lshlrev_b64 v[11:12], 2, v[11:12]
	v_dual_mov_b32 v16, v10 :: v_dual_add_nc_u32 v17, 32, v9
	v_lshlrev_b64 v[13:14], 2, v[13:14]
	v_add_co_u32 v19, vcc_lo, s8, v19
	v_dual_mov_b32 v18, v10 :: v_dual_add_nc_u32 v21, 40, v9
	v_add_co_ci_u32_e32 v20, vcc_lo, s9, v20, vcc_lo
	v_lshlrev_b64 v[15:16], 2, v[15:16]
	v_add_co_u32 v11, vcc_lo, s8, v11
	v_dual_mov_b32 v22, v10 :: v_dual_add_nc_u32 v23, 48, v9
	v_add_co_ci_u32_e32 v12, vcc_lo, s9, v12, vcc_lo
	v_add_co_u32 v13, vcc_lo, s8, v13
	v_lshlrev_b64 v[17:18], 2, v[17:18]
	v_dual_mov_b32 v24, v10 :: v_dual_add_nc_u32 v9, 56, v9
	v_add_co_ci_u32_e32 v14, vcc_lo, s9, v14, vcc_lo
	v_add_co_u32 v15, vcc_lo, s8, v15
	v_lshlrev_b64 v[21:22], 2, v[21:22]
	v_add_co_ci_u32_e32 v16, vcc_lo, s9, v16, vcc_lo
	v_add_co_u32 v17, vcc_lo, s8, v17
	v_lshlrev_b64 v[23:24], 2, v[23:24]
	;; [unrolled: 3-line block ×3, first 2 shown]
	v_add_co_ci_u32_e32 v22, vcc_lo, s9, v22, vcc_lo
	v_add_co_u32 v23, vcc_lo, s8, v23
	v_add_co_ci_u32_e32 v24, vcc_lo, s9, v24, vcc_lo
	s_delay_alu instid0(VALU_DEP_4)
	v_add_co_u32 v9, vcc_lo, s8, v9
	v_add_co_ci_u32_e32 v10, vcc_lo, s9, v10, vcc_lo
	s_clause 0x7
	global_load_b32 v0, v[19:20], off
	global_load_b32 v25, v[11:12], off
	;; [unrolled: 1-line block ×8, first 2 shown]
	s_waitcnt vmcnt(6)
	v_dual_add_f32 v0, v1, v0 :: v_dual_add_f32 v1, v2, v25
	s_waitcnt vmcnt(4)
	v_dual_add_f32 v2, v3, v26 :: v_dual_add_f32 v3, v4, v27
	;; [unrolled: 2-line block ×4, first 2 shown]
	s_clause 0x7
	global_store_b32 v[19:20], v0, off
	global_store_b32 v[11:12], v1, off
	global_store_b32 v[13:14], v2, off
	global_store_b32 v[15:16], v3, off
	global_store_b32 v[17:18], v4, off
	global_store_b32 v[21:22], v5, off
	global_store_b32 v[23:24], v6, off
	global_store_b32 v[9:10], v7, off
	s_nop 0
	s_sendmsg sendmsg(MSG_DEALLOC_VGPRS)
	s_endpgm
	.section	.rodata,"a",@progbits
	.p2align	6, 0x0
	.amdhsa_kernel _Z7cenergyifPfPK15HIP_vector_typeIfLj4EE
		.amdhsa_group_segment_fixed_size 0
		.amdhsa_private_segment_fixed_size 0
		.amdhsa_kernarg_size 280
		.amdhsa_user_sgpr_count 14
		.amdhsa_user_sgpr_dispatch_ptr 0
		.amdhsa_user_sgpr_queue_ptr 0
		.amdhsa_user_sgpr_kernarg_segment_ptr 1
		.amdhsa_user_sgpr_dispatch_id 0
		.amdhsa_user_sgpr_private_segment_size 0
		.amdhsa_wavefront_size32 1
		.amdhsa_uses_dynamic_stack 0
		.amdhsa_enable_private_segment 0
		.amdhsa_system_sgpr_workgroup_id_x 1
		.amdhsa_system_sgpr_workgroup_id_y 1
		.amdhsa_system_sgpr_workgroup_id_z 0
		.amdhsa_system_sgpr_workgroup_info 0
		.amdhsa_system_vgpr_workitem_id 1
		.amdhsa_next_free_vgpr 32
		.amdhsa_next_free_sgpr 17
		.amdhsa_reserve_vcc 1
		.amdhsa_float_round_mode_32 0
		.amdhsa_float_round_mode_16_64 0
		.amdhsa_float_denorm_mode_32 3
		.amdhsa_float_denorm_mode_16_64 3
		.amdhsa_dx10_clamp 1
		.amdhsa_ieee_mode 1
		.amdhsa_fp16_overflow 0
		.amdhsa_workgroup_processor_mode 1
		.amdhsa_memory_ordered 1
		.amdhsa_forward_progress 0
		.amdhsa_shared_vgpr_count 0
		.amdhsa_exception_fp_ieee_invalid_op 0
		.amdhsa_exception_fp_denorm_src 0
		.amdhsa_exception_fp_ieee_div_zero 0
		.amdhsa_exception_fp_ieee_overflow 0
		.amdhsa_exception_fp_ieee_underflow 0
		.amdhsa_exception_fp_ieee_inexact 0
		.amdhsa_exception_int_div_zero 0
	.end_amdhsa_kernel
	.text
.Lfunc_end0:
	.size	_Z7cenergyifPfPK15HIP_vector_typeIfLj4EE, .Lfunc_end0-_Z7cenergyifPfPK15HIP_vector_typeIfLj4EE
                                        ; -- End function
	.section	.AMDGPU.csdata,"",@progbits
; Kernel info:
; codeLenInByte = 1280
; NumSgprs: 19
; NumVgprs: 32
; ScratchSize: 0
; MemoryBound: 0
; FloatMode: 240
; IeeeMode: 1
; LDSByteSize: 0 bytes/workgroup (compile time only)
; SGPRBlocks: 2
; VGPRBlocks: 3
; NumSGPRsForWavesPerEU: 19
; NumVGPRsForWavesPerEU: 32
; Occupancy: 16
; WaveLimiterHint : 0
; COMPUTE_PGM_RSRC2:SCRATCH_EN: 0
; COMPUTE_PGM_RSRC2:USER_SGPR: 14
; COMPUTE_PGM_RSRC2:TRAP_HANDLER: 0
; COMPUTE_PGM_RSRC2:TGID_X_EN: 1
; COMPUTE_PGM_RSRC2:TGID_Y_EN: 1
; COMPUTE_PGM_RSRC2:TGID_Z_EN: 0
; COMPUTE_PGM_RSRC2:TIDIG_COMP_CNT: 1
	.text
	.p2alignl 7, 3214868480
	.fill 96, 4, 3214868480
	.type	__hip_cuid_91b181957302b0bd,@object ; @__hip_cuid_91b181957302b0bd
	.section	.bss,"aw",@nobits
	.globl	__hip_cuid_91b181957302b0bd
__hip_cuid_91b181957302b0bd:
	.byte	0                               ; 0x0
	.size	__hip_cuid_91b181957302b0bd, 1

	.ident	"AMD clang version 19.0.0git (https://github.com/RadeonOpenCompute/llvm-project roc-6.4.0 25133 c7fe45cf4b819c5991fe208aaa96edf142730f1d)"
	.section	".note.GNU-stack","",@progbits
	.addrsig
	.addrsig_sym __hip_cuid_91b181957302b0bd
	.amdgpu_metadata
---
amdhsa.kernels:
  - .args:
      - .offset:         0
        .size:           4
        .value_kind:     by_value
      - .offset:         4
        .size:           4
        .value_kind:     by_value
      - .address_space:  global
        .offset:         8
        .size:           8
        .value_kind:     global_buffer
      - .address_space:  global
        .offset:         16
        .size:           8
        .value_kind:     global_buffer
      - .offset:         24
        .size:           4
        .value_kind:     hidden_block_count_x
      - .offset:         28
        .size:           4
        .value_kind:     hidden_block_count_y
      - .offset:         32
        .size:           4
        .value_kind:     hidden_block_count_z
      - .offset:         36
        .size:           2
        .value_kind:     hidden_group_size_x
      - .offset:         38
        .size:           2
        .value_kind:     hidden_group_size_y
      - .offset:         40
        .size:           2
        .value_kind:     hidden_group_size_z
      - .offset:         42
        .size:           2
        .value_kind:     hidden_remainder_x
      - .offset:         44
        .size:           2
        .value_kind:     hidden_remainder_y
      - .offset:         46
        .size:           2
        .value_kind:     hidden_remainder_z
      - .offset:         64
        .size:           8
        .value_kind:     hidden_global_offset_x
      - .offset:         72
        .size:           8
        .value_kind:     hidden_global_offset_y
      - .offset:         80
        .size:           8
        .value_kind:     hidden_global_offset_z
      - .offset:         88
        .size:           2
        .value_kind:     hidden_grid_dims
    .group_segment_fixed_size: 0
    .kernarg_segment_align: 8
    .kernarg_segment_size: 280
    .language:       OpenCL C
    .language_version:
      - 2
      - 0
    .max_flat_workgroup_size: 1024
    .name:           _Z7cenergyifPfPK15HIP_vector_typeIfLj4EE
    .private_segment_fixed_size: 0
    .sgpr_count:     19
    .sgpr_spill_count: 0
    .symbol:         _Z7cenergyifPfPK15HIP_vector_typeIfLj4EE.kd
    .uniform_work_group_size: 1
    .uses_dynamic_stack: false
    .vgpr_count:     32
    .vgpr_spill_count: 0
    .wavefront_size: 32
    .workgroup_processor_mode: 1
amdhsa.target:   amdgcn-amd-amdhsa--gfx1100
amdhsa.version:
  - 1
  - 2
...

	.end_amdgpu_metadata
